;; amdgpu-corpus repo=ROCm/rocFFT kind=compiled arch=gfx1201 opt=O3
	.text
	.amdgcn_target "amdgcn-amd-amdhsa--gfx1201"
	.amdhsa_code_object_version 6
	.protected	fft_rtc_back_len121_factors_11_11_wgs_121_tpt_11_dp_ip_CI_sbcc ; -- Begin function fft_rtc_back_len121_factors_11_11_wgs_121_tpt_11_dp_ip_CI_sbcc
	.globl	fft_rtc_back_len121_factors_11_11_wgs_121_tpt_11_dp_ip_CI_sbcc
	.p2align	8
	.type	fft_rtc_back_len121_factors_11_11_wgs_121_tpt_11_dp_ip_CI_sbcc,@function
fft_rtc_back_len121_factors_11_11_wgs_121_tpt_11_dp_ip_CI_sbcc: ; @fft_rtc_back_len121_factors_11_11_wgs_121_tpt_11_dp_ip_CI_sbcc
; %bb.0:
	s_load_b128 s[8:11], s[0:1], 0x18
	s_mov_b32 s15, 0
	s_mov_b32 s2, 0x5d161400
	s_movk_i32 s3, 0x54
	s_mov_b32 s14, s15
	s_mov_b64 s[22:23], 0
	s_add_nc_u64 s[4:5], s[14:15], s[2:3]
	s_delay_alu instid0(SALU_CYCLE_1) | instskip(NEXT) | instid1(SALU_CYCLE_1)
	s_add_co_i32 s5, s5, 0x1745d120
	s_mul_u64 s[6:7], s[4:5], -11
	s_delay_alu instid0(SALU_CYCLE_1)
	s_mul_hi_u32 s13, s4, s7
	s_mul_i32 s12, s4, s7
	s_mul_hi_u32 s14, s4, s6
	s_mul_i32 s17, s5, s6
	s_add_nc_u64 s[12:13], s[14:15], s[12:13]
	s_mul_hi_u32 s16, s5, s6
	s_mul_hi_u32 s18, s5, s7
	s_mul_i32 s6, s5, s7
	s_wait_kmcnt 0x0
	s_load_b64 s[2:3], s[8:9], 0x8
	s_add_co_u32 s7, s12, s17
	s_add_co_ci_u32 s14, s13, s16
	s_add_co_ci_u32 s7, s18, 0
	s_delay_alu instid0(SALU_CYCLE_1) | instskip(NEXT) | instid1(SALU_CYCLE_1)
	s_add_nc_u64 s[6:7], s[14:15], s[6:7]
	v_add_co_u32 v1, s4, s4, s6
	s_delay_alu instid0(VALU_DEP_1) | instskip(SKIP_1) | instid1(VALU_DEP_1)
	s_cmp_lg_u32 s4, 0
	s_add_co_ci_u32 s12, s5, s7
	v_readfirstlane_b32 s13, v1
	s_wait_kmcnt 0x0
	s_add_nc_u64 s[4:5], s[2:3], -1
	s_wait_alu 0xfffe
	s_mul_hi_u32 s7, s4, s12
	s_mul_i32 s6, s4, s12
	s_mul_hi_u32 s14, s4, s13
	s_mul_hi_u32 s17, s5, s13
	s_mul_i32 s13, s5, s13
	s_wait_alu 0xfffe
	s_add_nc_u64 s[6:7], s[14:15], s[6:7]
	s_mul_hi_u32 s16, s5, s12
	s_wait_alu 0xfffe
	s_add_co_u32 s6, s6, s13
	s_add_co_ci_u32 s14, s7, s17
	s_mul_i32 s12, s5, s12
	s_add_co_ci_u32 s13, s16, 0
	s_delay_alu instid0(SALU_CYCLE_1) | instskip(SKIP_2) | instid1(SALU_CYCLE_1)
	s_add_nc_u64 s[6:7], s[14:15], s[12:13]
	s_wait_alu 0xfffe
	s_mul_u64 s[12:13], s[6:7], 11
	v_sub_co_u32 v1, s4, s4, s12
	s_delay_alu instid0(VALU_DEP_1) | instskip(SKIP_1) | instid1(VALU_DEP_1)
	s_cmp_lg_u32 s4, 0
	s_sub_co_ci_u32 s14, s5, s13
	v_sub_co_u32 v2, s12, v1, 11
	s_delay_alu instid0(VALU_DEP_1) | instskip(SKIP_2) | instid1(VALU_DEP_2)
	s_cmp_lg_u32 s12, 0
	v_readfirstlane_b32 s17, v1
	s_sub_co_ci_u32 s12, s14, 0
	v_readfirstlane_b32 s4, v2
	s_delay_alu instid0(VALU_DEP_1)
	s_cmp_gt_u32 s4, 10
	s_add_nc_u64 s[4:5], s[6:7], 1
	s_cselect_b32 s16, -1, 0
	s_wait_alu 0xfffe
	s_cmp_eq_u32 s12, 0
	s_add_nc_u64 s[12:13], s[6:7], 2
	s_cselect_b32 s16, s16, -1
	s_delay_alu instid0(SALU_CYCLE_1)
	s_cmp_lg_u32 s16, 0
	s_wait_alu 0xfffe
	s_cselect_b32 s4, s12, s4
	s_cselect_b32 s5, s13, s5
	s_cmp_gt_u32 s17, 10
	s_cselect_b32 s12, -1, 0
	s_cmp_eq_u32 s14, 0
	s_mov_b32 s14, ttmp9
	s_wait_alu 0xfffe
	s_cselect_b32 s12, s12, -1
	s_wait_alu 0xfffe
	s_cmp_lg_u32 s12, 0
	s_cselect_b32 s5, s5, s7
	s_cselect_b32 s4, s4, s6
	s_wait_alu 0xfffe
	s_add_nc_u64 s[18:19], s[4:5], 1
	s_delay_alu instid0(SALU_CYCLE_1) | instskip(NEXT) | instid1(VALU_DEP_1)
	v_cmp_lt_u64_e64 s4, s[14:15], s[18:19]
	s_and_b32 vcc_lo, exec_lo, s4
	s_cbranch_vccnz .LBB0_2
; %bb.1:
	v_cvt_f32_u32_e32 v1, s18
	s_sub_co_i32 s5, 0, s18
	s_mov_b32 s23, s15
	s_delay_alu instid0(VALU_DEP_1) | instskip(NEXT) | instid1(TRANS32_DEP_1)
	v_rcp_iflag_f32_e32 v1, v1
	v_mul_f32_e32 v1, 0x4f7ffffe, v1
	s_delay_alu instid0(VALU_DEP_1) | instskip(NEXT) | instid1(VALU_DEP_1)
	v_cvt_u32_f32_e32 v1, v1
	v_readfirstlane_b32 s4, v1
	s_wait_alu 0xfffe
	s_delay_alu instid0(VALU_DEP_1)
	s_mul_i32 s5, s5, s4
	s_wait_alu 0xfffe
	s_mul_hi_u32 s5, s4, s5
	s_wait_alu 0xfffe
	s_add_co_i32 s4, s4, s5
	s_wait_alu 0xfffe
	s_mul_hi_u32 s4, s14, s4
	s_wait_alu 0xfffe
	s_mul_i32 s5, s4, s18
	s_add_co_i32 s6, s4, 1
	s_wait_alu 0xfffe
	s_sub_co_i32 s5, s14, s5
	s_wait_alu 0xfffe
	s_sub_co_i32 s7, s5, s18
	s_cmp_ge_u32 s5, s18
	s_cselect_b32 s4, s6, s4
	s_wait_alu 0xfffe
	s_cselect_b32 s5, s7, s5
	s_add_co_i32 s6, s4, 1
	s_wait_alu 0xfffe
	s_cmp_ge_u32 s5, s18
	s_cselect_b32 s22, s6, s4
.LBB0_2:
	s_load_b64 s[24:25], s[0:1], 0x10
	s_load_b128 s[4:7], s[10:11], 0x0
	s_load_b64 s[20:21], s[0:1], 0x0
	s_mul_u64 s[12:13], s[22:23], s[18:19]
	s_wait_alu 0xfffe
	s_sub_nc_u64 s[12:13], s[14:15], s[12:13]
	s_wait_alu 0xfffe
	s_mul_u64 s[12:13], s[12:13], 11
	s_wait_kmcnt 0x0
	v_cmp_lt_u64_e64 s16, s[24:25], 3
	s_delay_alu instid0(VALU_DEP_1)
	s_and_b32 vcc_lo, exec_lo, s16
	s_wait_alu 0xfffe
	s_mul_u64 s[16:17], s[6:7], s[12:13]
	s_cbranch_vccnz .LBB0_12
; %bb.3:
	s_add_nc_u64 s[26:27], s[10:11], 16
	s_add_nc_u64 s[8:9], s[8:9], 16
	s_mov_b64 s[28:29], 2
	s_mov_b32 s30, 0
.LBB0_4:                                ; =>This Inner Loop Header: Depth=1
	s_load_b64 s[34:35], s[8:9], 0x0
                                        ; implicit-def: $sgpr38_sgpr39
	s_wait_kmcnt 0x0
	s_or_b64 s[36:37], s[22:23], s[34:35]
	s_delay_alu instid0(SALU_CYCLE_1)
	s_mov_b32 s31, s37
	s_mov_b32 s37, -1
	s_wait_alu 0xfffe
	s_cmp_lg_u64 s[30:31], 0
	s_cbranch_scc0 .LBB0_6
; %bb.5:                                ;   in Loop: Header=BB0_4 Depth=1
	s_cvt_f32_u32 s31, s34
	s_cvt_f32_u32 s33, s35
	s_sub_nc_u64 s[40:41], 0, s[34:35]
	s_mov_b32 s37, 0
	s_mov_b32 s45, s30
	s_wait_alu 0xfffe
	s_fmamk_f32 s31, s33, 0x4f800000, s31
	s_wait_alu 0xfffe
	s_delay_alu instid0(SALU_CYCLE_2) | instskip(NEXT) | instid1(TRANS32_DEP_1)
	v_s_rcp_f32 s31, s31
	s_mul_f32 s31, s31, 0x5f7ffffc
	s_wait_alu 0xfffe
	s_delay_alu instid0(SALU_CYCLE_2) | instskip(NEXT) | instid1(SALU_CYCLE_3)
	s_mul_f32 s33, s31, 0x2f800000
	s_trunc_f32 s33, s33
	s_delay_alu instid0(SALU_CYCLE_3) | instskip(SKIP_2) | instid1(SALU_CYCLE_1)
	s_fmamk_f32 s31, s33, 0xcf800000, s31
	s_cvt_u32_f32 s39, s33
	s_wait_alu 0xfffe
	s_cvt_u32_f32 s38, s31
	s_wait_alu 0xfffe
	s_delay_alu instid0(SALU_CYCLE_2)
	s_mul_u64 s[42:43], s[40:41], s[38:39]
	s_wait_alu 0xfffe
	s_mul_hi_u32 s47, s38, s43
	s_mul_i32 s46, s38, s43
	s_mul_hi_u32 s36, s38, s42
	s_mul_i32 s33, s39, s42
	s_add_nc_u64 s[46:47], s[36:37], s[46:47]
	s_mul_hi_u32 s31, s39, s42
	s_mul_hi_u32 s48, s39, s43
	s_add_co_u32 s33, s46, s33
	s_wait_alu 0xfffe
	s_add_co_ci_u32 s44, s47, s31
	s_mul_i32 s42, s39, s43
	s_add_co_ci_u32 s43, s48, 0
	s_wait_alu 0xfffe
	s_add_nc_u64 s[42:43], s[44:45], s[42:43]
	s_wait_alu 0xfffe
	v_add_co_u32 v1, s31, s38, s42
	s_delay_alu instid0(VALU_DEP_1) | instskip(SKIP_1) | instid1(VALU_DEP_1)
	s_cmp_lg_u32 s31, 0
	s_add_co_ci_u32 s39, s39, s43
	v_readfirstlane_b32 s38, v1
	s_mov_b32 s43, s30
	s_wait_alu 0xfffe
	s_delay_alu instid0(VALU_DEP_1)
	s_mul_u64 s[40:41], s[40:41], s[38:39]
	s_wait_alu 0xfffe
	s_mul_hi_u32 s45, s38, s41
	s_mul_i32 s44, s38, s41
	s_mul_hi_u32 s36, s38, s40
	s_mul_i32 s33, s39, s40
	s_add_nc_u64 s[44:45], s[36:37], s[44:45]
	s_mul_hi_u32 s31, s39, s40
	s_mul_hi_u32 s38, s39, s41
	s_add_co_u32 s33, s44, s33
	s_wait_alu 0xfffe
	s_add_co_ci_u32 s42, s45, s31
	s_mul_i32 s40, s39, s41
	s_add_co_ci_u32 s41, s38, 0
	s_wait_alu 0xfffe
	s_add_nc_u64 s[40:41], s[42:43], s[40:41]
	s_wait_alu 0xfffe
	v_add_co_u32 v1, s31, v1, s40
	s_delay_alu instid0(VALU_DEP_1) | instskip(SKIP_1) | instid1(VALU_DEP_1)
	s_cmp_lg_u32 s31, 0
	s_add_co_ci_u32 s31, s39, s41
	v_readfirstlane_b32 s33, v1
	s_wait_alu 0xfffe
	s_mul_hi_u32 s39, s22, s31
	s_mul_i32 s38, s22, s31
	s_mul_hi_u32 s41, s23, s31
	s_mul_i32 s40, s23, s31
	;; [unrolled: 2-line block ×3, first 2 shown]
	s_wait_alu 0xfffe
	s_add_nc_u64 s[38:39], s[36:37], s[38:39]
	s_mul_hi_u32 s33, s23, s33
	s_wait_alu 0xfffe
	s_add_co_u32 s31, s38, s31
	s_add_co_ci_u32 s42, s39, s33
	s_add_co_ci_u32 s41, s41, 0
	s_wait_alu 0xfffe
	s_add_nc_u64 s[38:39], s[42:43], s[40:41]
	s_wait_alu 0xfffe
	s_mul_u64 s[40:41], s[34:35], s[38:39]
	s_add_nc_u64 s[42:43], s[38:39], 1
	s_wait_alu 0xfffe
	v_sub_co_u32 v1, s31, s22, s40
	s_sub_co_i32 s33, s23, s41
	s_cmp_lg_u32 s31, 0
	s_add_nc_u64 s[44:45], s[38:39], 2
	s_delay_alu instid0(VALU_DEP_1) | instskip(SKIP_2) | instid1(VALU_DEP_1)
	v_sub_co_u32 v2, s36, v1, s34
	s_sub_co_ci_u32 s33, s33, s35
	s_cmp_lg_u32 s36, 0
	v_readfirstlane_b32 s36, v2
	s_sub_co_ci_u32 s33, s33, 0
	s_delay_alu instid0(SALU_CYCLE_1) | instskip(SKIP_1) | instid1(VALU_DEP_1)
	s_cmp_ge_u32 s33, s35
	s_cselect_b32 s40, -1, 0
	s_cmp_ge_u32 s36, s34
	s_cselect_b32 s36, -1, 0
	s_cmp_eq_u32 s33, s35
	s_wait_alu 0xfffe
	s_cselect_b32 s33, s36, s40
	s_delay_alu instid0(SALU_CYCLE_1)
	s_cmp_lg_u32 s33, 0
	s_cselect_b32 s33, s44, s42
	s_cselect_b32 s36, s45, s43
	s_cmp_lg_u32 s31, 0
	v_readfirstlane_b32 s31, v1
	s_sub_co_ci_u32 s40, s23, s41
	s_wait_alu 0xfffe
	s_cmp_ge_u32 s40, s35
	s_cselect_b32 s41, -1, 0
	s_cmp_ge_u32 s31, s34
	s_cselect_b32 s31, -1, 0
	s_cmp_eq_u32 s40, s35
	s_wait_alu 0xfffe
	s_cselect_b32 s31, s31, s41
	s_wait_alu 0xfffe
	s_cmp_lg_u32 s31, 0
	s_cselect_b32 s39, s36, s39
	s_cselect_b32 s38, s33, s38
.LBB0_6:                                ;   in Loop: Header=BB0_4 Depth=1
	s_and_not1_b32 vcc_lo, exec_lo, s37
	s_cbranch_vccnz .LBB0_8
; %bb.7:                                ;   in Loop: Header=BB0_4 Depth=1
	v_cvt_f32_u32_e32 v1, s34
	s_sub_co_i32 s33, 0, s34
	s_mov_b32 s39, s30
	s_delay_alu instid0(VALU_DEP_1) | instskip(NEXT) | instid1(TRANS32_DEP_1)
	v_rcp_iflag_f32_e32 v1, v1
	v_mul_f32_e32 v1, 0x4f7ffffe, v1
	s_delay_alu instid0(VALU_DEP_1) | instskip(NEXT) | instid1(VALU_DEP_1)
	v_cvt_u32_f32_e32 v1, v1
	v_readfirstlane_b32 s31, v1
	s_delay_alu instid0(VALU_DEP_1) | instskip(NEXT) | instid1(SALU_CYCLE_1)
	s_mul_i32 s33, s33, s31
	s_mul_hi_u32 s33, s31, s33
	s_delay_alu instid0(SALU_CYCLE_1)
	s_add_co_i32 s31, s31, s33
	s_wait_alu 0xfffe
	s_mul_hi_u32 s31, s22, s31
	s_wait_alu 0xfffe
	s_mul_i32 s33, s31, s34
	s_add_co_i32 s36, s31, 1
	s_sub_co_i32 s33, s22, s33
	s_delay_alu instid0(SALU_CYCLE_1)
	s_sub_co_i32 s37, s33, s34
	s_cmp_ge_u32 s33, s34
	s_cselect_b32 s31, s36, s31
	s_cselect_b32 s33, s37, s33
	s_wait_alu 0xfffe
	s_add_co_i32 s36, s31, 1
	s_cmp_ge_u32 s33, s34
	s_cselect_b32 s38, s36, s31
.LBB0_8:                                ;   in Loop: Header=BB0_4 Depth=1
	s_load_b64 s[36:37], s[26:27], 0x0
	s_add_nc_u64 s[28:29], s[28:29], 1
	s_mul_u64 s[18:19], s[34:35], s[18:19]
	s_wait_alu 0xfffe
	v_cmp_ge_u64_e64 s31, s[28:29], s[24:25]
	s_mul_u64 s[34:35], s[38:39], s[34:35]
	s_add_nc_u64 s[26:27], s[26:27], 8
	s_wait_alu 0xfffe
	s_sub_nc_u64 s[22:23], s[22:23], s[34:35]
	s_add_nc_u64 s[8:9], s[8:9], 8
	s_and_b32 vcc_lo, exec_lo, s31
	s_wait_kmcnt 0x0
	s_wait_alu 0xfffe
	s_mul_u64 s[22:23], s[36:37], s[22:23]
	s_wait_alu 0xfffe
	s_add_nc_u64 s[16:17], s[22:23], s[16:17]
	s_cbranch_vccnz .LBB0_10
; %bb.9:                                ;   in Loop: Header=BB0_4 Depth=1
	s_mov_b64 s[22:23], s[38:39]
	s_branch .LBB0_4
.LBB0_10:
	v_cmp_lt_u64_e64 s8, s[14:15], s[18:19]
	s_mov_b64 s[22:23], 0
	s_delay_alu instid0(VALU_DEP_1)
	s_and_b32 vcc_lo, exec_lo, s8
	s_cbranch_vccnz .LBB0_12
; %bb.11:
	v_cvt_f32_u32_e32 v1, s18
	s_sub_co_i32 s9, 0, s18
	s_mov_b32 s23, 0
	s_delay_alu instid0(VALU_DEP_1) | instskip(NEXT) | instid1(TRANS32_DEP_1)
	v_rcp_iflag_f32_e32 v1, v1
	v_mul_f32_e32 v1, 0x4f7ffffe, v1
	s_delay_alu instid0(VALU_DEP_1) | instskip(NEXT) | instid1(VALU_DEP_1)
	v_cvt_u32_f32_e32 v1, v1
	v_readfirstlane_b32 s8, v1
	s_delay_alu instid0(VALU_DEP_1) | instskip(NEXT) | instid1(SALU_CYCLE_1)
	s_mul_i32 s9, s9, s8
	s_mul_hi_u32 s9, s8, s9
	s_delay_alu instid0(SALU_CYCLE_1) | instskip(NEXT) | instid1(SALU_CYCLE_1)
	s_add_co_i32 s8, s8, s9
	s_mul_hi_u32 s8, s14, s8
	s_delay_alu instid0(SALU_CYCLE_1) | instskip(NEXT) | instid1(SALU_CYCLE_1)
	s_mul_i32 s9, s8, s18
	s_sub_co_i32 s9, s14, s9
	s_add_co_i32 s14, s8, 1
	s_sub_co_i32 s15, s9, s18
	s_cmp_ge_u32 s9, s18
	s_wait_alu 0xfffe
	s_cselect_b32 s8, s14, s8
	s_cselect_b32 s9, s15, s9
	s_add_co_i32 s14, s8, 1
	s_cmp_ge_u32 s9, s18
	s_wait_alu 0xfffe
	s_cselect_b32 s22, s14, s8
.LBB0_12:
	v_mul_u32_u24_e32 v1, 0x1746, v0
	s_lshl_b64 s[8:9], s[24:25], 3
	s_load_b64 s[0:1], s[0:1], 0x58
	s_add_nc_u64 s[8:9], s[10:11], s[8:9]
	s_add_nc_u64 s[10:11], s[12:13], 11
	v_lshrrev_b32_e32 v41, 16, v1
	s_load_b64 s[8:9], s[8:9], 0x0
	v_cmp_le_u64_e64 s10, s[10:11], s[2:3]
	s_delay_alu instid0(VALU_DEP_2)
	v_mul_lo_u16 v1, v41, 11
	v_lshlrev_b32_e32 v43, 4, v41
	v_add_nc_u32_e32 v42, 11, v41
	v_add_nc_u32_e32 v40, 22, v41
	;; [unrolled: 1-line block ×3, first 2 shown]
	v_sub_nc_u16 v0, v0, v1
	v_add_nc_u32_e32 v38, 44, v41
	v_add_nc_u32_e32 v37, 55, v41
	;; [unrolled: 1-line block ×4, first 2 shown]
	v_and_b32_e32 v44, 0xffff, v0
	v_add_nc_u32_e32 v33, 0x58, v41
	v_add_nc_u32_e32 v34, 0x63, v41
	;; [unrolled: 1-line block ×3, first 2 shown]
	s_delay_alu instid0(VALU_DEP_4)
	v_add_co_u32 v0, s11, s12, v44
	s_wait_alu 0xf1ff
	v_add_co_ci_u32_e64 v1, null, s13, 0, s11
	v_mul_u32_u24_e32 v45, 0x790, v44
	s_wait_kmcnt 0x0
	s_mul_u64 s[8:9], s[8:9], s[22:23]
	s_delay_alu instid0(VALU_DEP_2) | instskip(SKIP_3) | instid1(SALU_CYCLE_1)
	v_cmp_gt_u64_e32 vcc_lo, s[2:3], v[0:1]
	s_add_nc_u64 s[2:3], s[8:9], s[16:17]
	s_mov_b32 s8, 0
	s_or_b32 s33, s10, vcc_lo
	s_and_saveexec_b32 s9, s33
	s_cbranch_execz .LBB0_14
; %bb.13:
	v_mad_co_u64_u32 v[0:1], null, s6, v44, 0
	v_mad_co_u64_u32 v[2:3], null, s4, v41, 0
	;; [unrolled: 1-line block ×5, first 2 shown]
	s_delay_alu instid0(VALU_DEP_4) | instskip(NEXT) | instid1(VALU_DEP_4)
	v_mad_co_u64_u32 v[6:7], null, s7, v44, v[1:2]
	v_mov_b32_e32 v1, v5
	v_mad_co_u64_u32 v[10:11], null, s5, v41, v[3:4]
	v_mad_co_u64_u32 v[11:12], null, s4, v39, 0
	s_delay_alu instid0(VALU_DEP_3)
	v_mad_co_u64_u32 v[13:14], null, s5, v42, v[1:2]
	v_mov_b32_e32 v1, v6
	s_wait_alu 0xfffe
	s_lshl_b64 s[10:11], s[2:3], 4
	v_mov_b32_e32 v6, v9
	v_mad_co_u64_u32 v[26:27], null, s4, v35, 0
	v_lshlrev_b64_e32 v[0:1], 4, v[0:1]
	v_dual_mov_b32 v7, v12 :: v_dual_mov_b32 v22, v25
	v_mov_b32_e32 v5, v13
	s_wait_alu 0xfffe
	s_add_nc_u64 s[10:11], s[0:1], s[10:11]
	v_mad_co_u64_u32 v[16:17], null, s4, v38, 0
	s_wait_alu 0xfffe
	v_add_co_u32 v54, vcc_lo, s10, v0
	v_add_co_ci_u32_e32 v55, vcc_lo, s11, v1, vcc_lo
	v_lshlrev_b64_e32 v[0:1], 4, v[4:5]
	v_mad_co_u64_u32 v[4:5], null, s5, v40, v[6:7]
	v_mad_co_u64_u32 v[5:6], null, s5, v39, v[7:8]
	v_dual_mov_b32 v3, v10 :: v_dual_mov_b32 v10, v17
	v_mad_co_u64_u32 v[18:19], null, s4, v37, 0
	s_delay_alu instid0(VALU_DEP_4) | instskip(NEXT) | instid1(VALU_DEP_3)
	v_mov_b32_e32 v9, v4
	v_lshlrev_b64_e32 v[2:3], 4, v[2:3]
	v_mov_b32_e32 v12, v5
	v_mad_co_u64_u32 v[28:29], null, s4, v33, 0
	s_delay_alu instid0(VALU_DEP_4) | instskip(SKIP_1) | instid1(VALU_DEP_4)
	v_lshlrev_b64_e32 v[8:9], 4, v[8:9]
	v_mov_b32_e32 v13, v19
	v_lshlrev_b64_e32 v[11:12], 4, v[11:12]
	v_add_co_u32 v2, vcc_lo, v54, v2
	s_wait_alu 0xfffd
	v_add_co_ci_u32_e32 v3, vcc_lo, v55, v3, vcc_lo
	v_add_co_u32 v6, vcc_lo, v54, v0
	s_delay_alu instid0(VALU_DEP_4)
	v_mad_co_u64_u32 v[14:15], null, s5, v38, v[10:11]
	s_wait_alu 0xfffd
	v_add_co_ci_u32_e32 v7, vcc_lo, v55, v1, vcc_lo
	v_add_co_u32 v8, vcc_lo, v54, v8
	s_wait_alu 0xfffd
	v_add_co_ci_u32_e32 v9, vcc_lo, v55, v9, vcc_lo
	s_delay_alu instid0(VALU_DEP_4) | instskip(SKIP_4) | instid1(VALU_DEP_3)
	v_mad_co_u64_u32 v[19:20], null, s5, v37, v[13:14]
	v_mov_b32_e32 v17, v14
	v_add_co_u32 v20, vcc_lo, v54, v11
	s_wait_alu 0xfffd
	v_add_co_ci_u32_e32 v21, vcc_lo, v55, v12, vcc_lo
	v_lshlrev_b64_e32 v[16:17], 4, v[16:17]
	v_lshlrev_b64_e32 v[18:19], 4, v[18:19]
	s_clause 0x3
	global_load_b128 v[0:3], v[2:3], off
	global_load_b128 v[4:7], v[6:7], off
	;; [unrolled: 1-line block ×4, first 2 shown]
	v_mad_co_u64_u32 v[20:21], null, s5, v36, v[22:23]
	v_add_co_u32 v16, vcc_lo, v54, v16
	s_wait_alu 0xfffd
	v_add_co_ci_u32_e32 v17, vcc_lo, v55, v17, vcc_lo
	v_add_co_u32 v21, vcc_lo, v54, v18
	s_wait_alu 0xfffd
	v_add_co_ci_u32_e32 v22, vcc_lo, v55, v19, vcc_lo
	v_dual_mov_b32 v18, v27 :: v_dual_mov_b32 v19, v29
	v_mad_co_u64_u32 v[30:31], null, s4, v34, 0
	v_mov_b32_e32 v25, v20
	v_add3_u32 v58, 0, v45, v43
	s_delay_alu instid0(VALU_DEP_4)
	v_mad_co_u64_u32 v[46:47], null, s5, v35, v[18:19]
	v_mad_co_u64_u32 v[47:48], null, s5, v33, v[19:20]
	;; [unrolled: 1-line block ×3, first 2 shown]
	v_lshlrev_b64_e32 v[24:25], 4, v[24:25]
	s_clause 0x1
	global_load_b128 v[16:19], v[16:17], off
	global_load_b128 v[20:23], v[21:22], off
	v_mov_b32_e32 v27, v46
	v_mov_b32_e32 v29, v47
	v_mad_co_u64_u32 v[46:47], null, s5, v34, v[31:32]
	v_mov_b32_e32 v31, v49
	s_delay_alu instid0(VALU_DEP_4) | instskip(SKIP_2) | instid1(VALU_DEP_4)
	v_lshlrev_b64_e32 v[26:27], 4, v[26:27]
	v_add_co_u32 v24, vcc_lo, v54, v24
	v_lshlrev_b64_e32 v[28:29], 4, v[28:29]
	v_mad_co_u64_u32 v[49:50], null, s5, v32, v[31:32]
	v_mov_b32_e32 v31, v46
	s_wait_alu 0xfffd
	v_add_co_ci_u32_e32 v25, vcc_lo, v55, v25, vcc_lo
	v_add_co_u32 v46, vcc_lo, v54, v26
	s_wait_alu 0xfffd
	v_add_co_ci_u32_e32 v47, vcc_lo, v55, v27, vcc_lo
	v_lshlrev_b64_e32 v[26:27], 4, v[30:31]
	v_add_co_u32 v50, vcc_lo, v54, v28
	s_wait_alu 0xfffd
	v_add_co_ci_u32_e32 v51, vcc_lo, v55, v29, vcc_lo
	v_lshlrev_b64_e32 v[28:29], 4, v[48:49]
	s_delay_alu instid0(VALU_DEP_4) | instskip(SKIP_2) | instid1(VALU_DEP_3)
	v_add_co_u32 v52, vcc_lo, v54, v26
	s_wait_alu 0xfffd
	v_add_co_ci_u32_e32 v53, vcc_lo, v55, v27, vcc_lo
	v_add_co_u32 v54, vcc_lo, v54, v28
	s_wait_alu 0xfffd
	v_add_co_ci_u32_e32 v55, vcc_lo, v55, v29, vcc_lo
	s_clause 0x4
	global_load_b128 v[24:27], v[24:25], off
	global_load_b128 v[28:31], v[46:47], off
	;; [unrolled: 1-line block ×5, first 2 shown]
	s_wait_loadcnt 0xa
	ds_store_b128 v58, v[0:3]
	s_wait_loadcnt 0x9
	ds_store_b128 v58, v[4:7] offset:176
	s_wait_loadcnt 0x8
	ds_store_b128 v58, v[8:11] offset:352
	;; [unrolled: 2-line block ×10, first 2 shown]
.LBB0_14:
	s_or_b32 exec_lo, exec_lo, s9
	s_mov_b32 s10, 0x5d161400
	s_movk_i32 s11, 0x54
	s_mov_b32 s9, s8
	s_mov_b32 s19, s8
	s_wait_alu 0xfffe
	s_add_nc_u64 s[10:11], s[8:9], s[10:11]
	global_wb scope:SCOPE_SE
	s_wait_dscnt 0x0
	s_wait_alu 0xfffe
	s_add_co_i32 s11, s11, 0x1745d120
	s_barrier_signal -1
	s_wait_alu 0xfffe
	s_mul_u64 s[14:15], s[10:11], -11
	s_barrier_wait -1
	s_wait_alu 0xfffe
	s_mul_hi_u32 s17, s10, s15
	s_mul_i32 s16, s10, s15
	s_mul_hi_u32 s18, s10, s14
	s_mul_hi_u32 s9, s11, s14
	s_mul_i32 s14, s11, s14
	s_wait_alu 0xfffe
	s_add_nc_u64 s[16:17], s[18:19], s[16:17]
	s_mul_hi_u32 s18, s11, s15
	s_add_co_u32 s14, s16, s14
	s_add_co_ci_u32 s14, s17, s9
	s_wait_alu 0xfffe
	s_add_co_ci_u32 s17, s18, 0
	s_mul_i32 s16, s11, s15
	s_mov_b32 s15, s8
	global_inv scope:SCOPE_SE
	s_wait_alu 0xfffe
	s_add_nc_u64 s[8:9], s[14:15], s[16:17]
	s_mov_b32 s16, 0x8764f0ba
	v_add_co_u32 v2, s8, s10, s8
	s_delay_alu instid0(VALU_DEP_1) | instskip(SKIP_4) | instid1(VALU_DEP_2)
	s_cmp_lg_u32 s8, 0
	v_add_co_u32 v4, s8, s12, v41
	s_add_co_ci_u32 s9, s11, s9
	v_add_co_ci_u32_e64 v5, null, s13, 0, s8
	s_wait_alu 0xfffe
	v_mad_co_u64_u32 v[0:1], null, v4, s9, 0
	v_mul_hi_u32 v6, v4, v2
	s_delay_alu instid0(VALU_DEP_3)
	v_mad_co_u64_u32 v[2:3], null, v5, v2, 0
	s_mov_b32 s12, 0x8eee2c13
	s_mov_b32 s18, 0xd9c712b6
	s_mov_b32 s17, 0x3feaeb8c
	s_mov_b32 s13, 0xbfed1bb4
	s_mov_b32 s19, 0x3fda9628
	s_delay_alu instid0(VALU_DEP_2) | instskip(SKIP_3) | instid1(VALU_DEP_3)
	v_add_co_u32 v6, vcc_lo, v6, v0
	s_wait_alu 0xfffd
	v_add_co_ci_u32_e32 v7, vcc_lo, 0, v1, vcc_lo
	v_mad_co_u64_u32 v[0:1], null, v5, s9, 0
	v_add_co_u32 v2, vcc_lo, v6, v2
	s_wait_alu 0xfffd
	s_delay_alu instid0(VALU_DEP_3) | instskip(SKIP_3) | instid1(VALU_DEP_3)
	v_add_co_ci_u32_e32 v2, vcc_lo, v7, v3, vcc_lo
	s_mov_b32 s8, 0xf8bb580b
	s_mov_b32 s9, 0xbfe14ced
	s_wait_alu 0xfffd
	v_add_co_ci_u32_e32 v1, vcc_lo, 0, v1, vcc_lo
	v_add_co_u32 v0, vcc_lo, v2, v0
	s_mov_b32 s22, 0x43842ef
	s_wait_alu 0xfffd
	s_delay_alu instid0(VALU_DEP_2) | instskip(NEXT) | instid1(VALU_DEP_2)
	v_add_co_ci_u32_e32 v2, vcc_lo, 0, v1, vcc_lo
	v_mad_co_u64_u32 v[0:1], null, v0, 11, 0
	s_mov_b32 s28, 0x640f44db
	s_mov_b32 s23, 0xbfefac9e
	s_mov_b32 s29, 0xbfc2375f
	s_mov_b32 s26, 0xbb3a28a1
	s_mov_b32 s34, 0x7f775887
	s_mov_b32 s36, 0xfd768dbf
	s_delay_alu instid0(VALU_DEP_1)
	v_mad_co_u64_u32 v[1:2], null, v2, 11, v[1:2]
	v_sub_co_u32 v0, vcc_lo, v4, v0
	s_mov_b32 s27, 0xbfe82f19
	s_mov_b32 s35, 0xbfe4f49e
	;; [unrolled: 1-line block ×4, first 2 shown]
	s_wait_alu 0xfffd
	s_delay_alu instid0(VALU_DEP_2) | instskip(SKIP_3) | instid1(VALU_DEP_2)
	v_sub_co_ci_u32_e32 v1, vcc_lo, v5, v1, vcc_lo
	v_sub_co_u32 v2, vcc_lo, v0, 11
	s_mov_b32 s41, 0xbfeeb42a
	s_wait_alu 0xfffd
	v_subrev_co_ci_u32_e32 v3, vcc_lo, 0, v1, vcc_lo
	s_delay_alu instid0(VALU_DEP_2)
	v_cmp_lt_u32_e32 vcc_lo, 10, v2
	s_mov_b32 s11, 0x3fe14ced
	s_mov_b32 s15, 0x3fed1bb4
	;; [unrolled: 1-line block ×4, first 2 shown]
	s_wait_alu 0xfffd
	v_cndmask_b32_e64 v4, 0, -1, vcc_lo
	v_cmp_lt_u32_e32 vcc_lo, 10, v0
	s_wait_alu 0xfffe
	s_mov_b32 s10, s8
	s_mov_b32 s14, s12
	;; [unrolled: 1-line block ×4, first 2 shown]
	s_wait_alu 0xfffd
	v_cndmask_b32_e64 v5, 0, -1, vcc_lo
	v_cmp_eq_u32_e32 vcc_lo, 0, v3
	s_mov_b32 s31, 0x3fe82f19
	s_mov_b32 s30, s26
	s_wait_alu 0xfffd
	v_dual_cndmask_b32 v3, -1, v4 :: v_dual_add_nc_u32 v4, -11, v2
	v_cmp_eq_u32_e32 vcc_lo, 0, v1
	s_wait_alu 0xfffd
	v_cndmask_b32_e32 v1, -1, v5, vcc_lo
	s_delay_alu instid0(VALU_DEP_3) | instskip(SKIP_2) | instid1(VALU_DEP_3)
	v_cmp_ne_u32_e32 vcc_lo, 0, v3
	s_wait_alu 0xfffd
	v_cndmask_b32_e32 v2, v2, v4, vcc_lo
	v_cmp_ne_u32_e32 vcc_lo, 0, v1
	s_wait_alu 0xfffd
	s_delay_alu instid0(VALU_DEP_2) | instskip(NEXT) | instid1(VALU_DEP_1)
	v_dual_cndmask_b32 v0, v0, v2 :: v_dual_lshlrev_b32 v1, 4, v44
	v_mul_u32_u24_e32 v0, 0x79, v0
	s_delay_alu instid0(VALU_DEP_1) | instskip(NEXT) | instid1(VALU_DEP_1)
	v_lshlrev_b32_e32 v0, 4, v0
	v_add3_u32 v28, 0, v0, v1
	v_add3_u32 v46, 0, v1, v0
	ds_load_b128 v[4:7], v28
	ds_load_b128 v[24:27], v46 offset:176
	ds_load_b128 v[0:3], v46 offset:1760
	;; [unrolled: 1-line block ×10, first 2 shown]
	global_wb scope:SCOPE_SE
	s_wait_dscnt 0x0
	s_barrier_signal -1
	s_barrier_wait -1
	global_inv scope:SCOPE_SE
	v_add_f64_e32 v[29:30], v[4:5], v[24:25]
	v_add_f64_e32 v[63:64], v[6:7], v[26:27]
	v_add_f64_e64 v[65:66], v[26:27], -v[2:3]
	v_add_f64_e32 v[67:68], v[26:27], v[2:3]
	v_add_f64_e32 v[77:78], v[51:52], v[12:13]
	v_add_f64_e64 v[81:82], v[51:52], -v[12:13]
	v_add_f64_e64 v[69:70], v[49:50], -v[10:11]
	v_add_f64_e32 v[73:74], v[24:25], v[0:1]
	v_add_f64_e64 v[75:76], v[24:25], -v[0:1]
	v_add_f64_e32 v[83:84], v[20:21], v[16:17]
	v_add_f64_e32 v[85:86], v[22:23], v[18:19]
	v_add_f64_e64 v[87:88], v[20:21], -v[16:17]
	v_add_f64_e64 v[89:90], v[22:23], -v[18:19]
	;; [unrolled: 1-line block ×3, first 2 shown]
	v_add_f64_e32 v[79:80], v[53:54], v[14:15]
	v_add_f64_e32 v[95:96], v[47:48], v[8:9]
	;; [unrolled: 1-line block ×3, first 2 shown]
	v_add_f64_e64 v[24:25], v[55:56], -v[59:60]
	v_add_f64_e32 v[91:92], v[57:58], v[61:62]
	v_add_f64_e64 v[93:94], v[57:58], -v[61:62]
	v_add_f64_e32 v[29:30], v[29:30], v[47:48]
	v_add_f64_e32 v[63:64], v[63:64], v[49:50]
	;; [unrolled: 1-line block ×3, first 2 shown]
	v_mul_f64_e32 v[97:98], s[8:9], v[65:66]
	v_mul_f64_e32 v[99:100], s[16:17], v[67:68]
	;; [unrolled: 1-line block ×10, first 2 shown]
	v_add_f64_e64 v[47:48], v[47:48], -v[8:9]
	v_mul_f64_e32 v[113:114], s[12:13], v[69:70]
	v_mul_f64_e32 v[115:116], s[26:27], v[69:70]
	s_wait_alu 0xfffe
	v_mul_f64_e32 v[117:118], s[38:39], v[69:70]
	v_mul_f64_e32 v[119:120], s[24:25], v[69:70]
	;; [unrolled: 1-line block ×22, first 2 shown]
	v_add_f64_e32 v[29:30], v[29:30], v[51:52]
	v_add_f64_e32 v[51:52], v[63:64], v[53:54]
	v_mul_f64_e32 v[53:54], s[10:11], v[69:70]
	v_mul_f64_e32 v[63:64], s[18:19], v[49:50]
	;; [unrolled: 1-line block ×3, first 2 shown]
	v_fma_f64 v[173:174], v[73:74], s[18:19], v[101:102]
	v_fma_f64 v[175:176], v[75:76], s[14:15], v[103:104]
	v_mul_f64_e32 v[121:122], s[40:41], v[49:50]
	v_fma_f64 v[101:102], v[73:74], s[18:19], -v[101:102]
	v_fma_f64 v[177:178], v[73:74], s[28:29], v[105:106]
	v_fma_f64 v[179:180], v[75:76], s[24:25], v[107:108]
	v_mul_f64_e32 v[123:124], s[28:29], v[49:50]
	v_fma_f64 v[105:106], v[73:74], s[28:29], -v[105:106]
	v_fma_f64 v[181:182], v[73:74], s[34:35], v[109:110]
	v_fma_f64 v[109:110], v[73:74], s[34:35], -v[109:110]
	v_fma_f64 v[183:184], v[73:74], s[40:41], v[65:66]
	v_fma_f64 v[65:66], v[73:74], s[40:41], -v[65:66]
	v_mul_f64_e32 v[49:50], s[16:17], v[49:50]
	v_fma_f64 v[185:186], v[75:76], s[38:39], v[67:68]
	v_fma_f64 v[67:68], v[75:76], s[36:37], v[67:68]
	;; [unrolled: 1-line block ×5, first 2 shown]
	v_fma_f64 v[115:116], v[95:96], s[34:35], -v[115:116]
	v_fma_f64 v[189:190], v[95:96], s[40:41], v[117:118]
	v_fma_f64 v[117:118], v[95:96], s[40:41], -v[117:118]
	v_fma_f64 v[191:192], v[95:96], s[28:29], v[119:120]
	;; [unrolled: 2-line block ×6, first 2 shown]
	v_fma_f64 v[71:72], v[77:78], s[34:35], -v[71:72]
	v_mul_f64_e32 v[157:158], s[36:37], v[93:94]
	v_mul_f64_e32 v[159:160], s[10:11], v[93:94]
	v_add_f64_e32 v[20:21], v[29:30], v[20:21]
	v_add_f64_e32 v[22:23], v[51:52], v[22:23]
	v_fma_f64 v[29:30], v[73:74], s[16:17], v[97:98]
	v_fma_f64 v[51:52], v[75:76], s[10:11], v[99:100]
	v_fma_f64 v[97:98], v[73:74], s[16:17], -v[97:98]
	v_fma_f64 v[99:100], v[75:76], s[8:9], v[99:100]
	v_fma_f64 v[73:74], v[75:76], s[30:31], v[111:112]
	;; [unrolled: 1-line block ×4, first 2 shown]
	v_fma_f64 v[113:114], v[95:96], s[18:19], -v[113:114]
	v_fma_f64 v[193:194], v[95:96], s[16:17], v[53:54]
	v_fma_f64 v[53:54], v[95:96], s[16:17], -v[53:54]
	v_fma_f64 v[95:96], v[47:48], s[14:15], v[63:64]
	v_fma_f64 v[63:64], v[47:48], s[12:13], v[63:64]
	;; [unrolled: 1-line block ×3, first 2 shown]
	v_add_f64_e32 v[173:174], v[4:5], v[173:174]
	v_add_f64_e32 v[175:176], v[6:7], v[175:176]
	v_fma_f64 v[197:198], v[47:48], s[36:37], v[121:122]
	v_add_f64_e32 v[101:102], v[4:5], v[101:102]
	v_add_f64_e32 v[177:178], v[4:5], v[177:178]
	;; [unrolled: 1-line block ×8, first 2 shown]
	v_fma_f64 v[69:70], v[47:48], s[26:27], v[69:70]
	v_fma_f64 v[121:122], v[47:48], s[38:39], v[121:122]
	v_add_f64_e32 v[107:108], v[6:7], v[107:108]
	v_add_f64_e32 v[103:104], v[6:7], v[103:104]
	v_mul_f64_e32 v[161:162], s[26:27], v[93:94]
	v_mul_f64_e32 v[163:164], s[14:15], v[93:94]
	;; [unrolled: 1-line block ×8, first 2 shown]
	v_add_f64_e32 v[20:21], v[20:21], v[55:56]
	v_add_f64_e32 v[22:23], v[22:23], v[57:58]
	;; [unrolled: 1-line block ×3, first 2 shown]
	v_fma_f64 v[55:56], v[47:48], s[22:23], v[123:124]
	v_add_f64_e32 v[97:98], v[4:5], v[97:98]
	v_add_f64_e32 v[99:100], v[6:7], v[99:100]
	v_add_f64_e32 v[73:74], v[6:7], v[73:74]
	v_fma_f64 v[57:58], v[47:48], s[24:25], v[123:124]
	v_fma_f64 v[123:124], v[47:48], s[8:9], v[49:50]
	;; [unrolled: 1-line block ×3, first 2 shown]
	v_add_f64_e32 v[4:5], v[4:5], v[65:66]
	v_add_f64_e32 v[65:66], v[6:7], v[67:68]
	;; [unrolled: 1-line block ×4, first 2 shown]
	v_fma_f64 v[49:50], v[77:78], s[28:29], v[125:126]
	v_fma_f64 v[125:126], v[77:78], s[28:29], -v[125:126]
	v_fma_f64 v[77:78], v[81:82], s[24:25], v[133:134]
	v_fma_f64 v[133:134], v[81:82], s[22:23], v[133:134]
	;; [unrolled: 1-line block ×3, first 2 shown]
	v_add_f64_e32 v[101:102], v[115:116], v[101:102]
	v_add_f64_e32 v[115:116], v[197:198], v[179:180]
	v_add_f64_e32 v[105:106], v[117:118], v[105:106]
	v_add_f64_e32 v[117:118], v[191:192], v[181:182]
	v_fma_f64 v[111:112], v[81:82], s[14:15], v[137:138]
	v_fma_f64 v[207:208], v[83:84], s[28:29], v[143:144]
	v_fma_f64 v[143:144], v[83:84], s[28:29], -v[143:144]
	v_fma_f64 v[209:210], v[83:84], s[16:17], v[145:146]
	v_fma_f64 v[145:146], v[83:84], s[16:17], -v[145:146]
	;; [unrolled: 2-line block ×3, first 2 shown]
	v_add_f64_e32 v[20:21], v[20:21], v[59:60]
	v_add_f64_e32 v[22:23], v[22:23], v[61:62]
	;; [unrolled: 1-line block ×3, first 2 shown]
	v_fma_f64 v[61:62], v[81:82], s[12:13], v[137:138]
	v_add_f64_e32 v[75:76], v[113:114], v[97:98]
	v_add_f64_e32 v[63:64], v[63:64], v[99:100]
	;; [unrolled: 1-line block ×5, first 2 shown]
	v_fma_f64 v[59:60], v[81:82], s[38:39], v[135:136]
	v_fma_f64 v[135:136], v[81:82], s[10:11], v[139:140]
	v_add_f64_e32 v[55:56], v[55:56], v[73:74]
	v_fma_f64 v[137:138], v[81:82], s[8:9], v[139:140]
	v_fma_f64 v[139:140], v[81:82], s[30:31], v[79:80]
	v_add_f64_e32 v[73:74], v[119:120], v[109:110]
	v_add_f64_e32 v[109:110], v[193:194], v[183:184]
	;; [unrolled: 1-line block ×3, first 2 shown]
	v_fma_f64 v[79:80], v[81:82], s[26:27], v[79:80]
	v_add_f64_e32 v[4:5], v[53:54], v[4:5]
	v_add_f64_e32 v[47:48], v[47:48], v[65:66]
	;; [unrolled: 1-line block ×6, first 2 shown]
	v_fma_f64 v[81:82], v[83:84], s[34:35], v[141:142]
	v_fma_f64 v[141:142], v[83:84], s[34:35], -v[141:142]
	v_fma_f64 v[69:70], v[87:88], s[26:27], v[149:150]
	v_fma_f64 v[95:96], v[87:88], s[10:11], v[153:154]
	;; [unrolled: 1-line block ×8, first 2 shown]
	v_fma_f64 v[149:150], v[26:27], s[40:41], -v[157:158]
	v_fma_f64 v[153:154], v[26:27], s[16:17], -v[159:160]
	v_add_f64_e32 v[16:17], v[20:21], v[16:17]
	v_add_f64_e32 v[18:19], v[22:23], v[18:19]
	v_fma_f64 v[20:21], v[83:84], s[18:19], v[89:90]
	v_fma_f64 v[22:23], v[83:84], s[18:19], -v[89:90]
	v_fma_f64 v[83:84], v[87:88], s[22:23], v[151:152]
	v_add_f64_e32 v[29:30], v[49:50], v[29:30]
	v_add_f64_e32 v[49:50], v[125:126], v[75:76]
	;; [unrolled: 1-line block ×18, first 2 shown]
	v_fma_f64 v[89:90], v[87:88], s[24:25], v[151:152]
	v_add_f64_e32 v[59:60], v[59:60], v[65:66]
	v_add_f64_e32 v[6:7], v[77:78], v[6:7]
	v_fma_f64 v[87:88], v[26:27], s[40:41], v[157:158]
	v_fma_f64 v[151:152], v[26:27], s[16:17], v[159:160]
	v_fma_f64 v[65:66], v[26:27], s[34:35], -v[161:162]
	v_fma_f64 v[71:72], v[26:27], s[18:19], v[163:164]
	v_fma_f64 v[77:78], v[26:27], s[18:19], -v[163:164]
	v_fma_f64 v[79:80], v[26:27], s[28:29], v[93:94]
	v_fma_f64 v[111:112], v[24:25], s[30:31], v[167:168]
	;; [unrolled: 1-line block ×7, first 2 shown]
	v_add_f64_e32 v[12:13], v[16:17], v[12:13]
	v_add_f64_e32 v[14:15], v[18:19], v[14:15]
	v_fma_f64 v[18:19], v[26:27], s[34:35], v[161:162]
	v_fma_f64 v[26:27], v[26:27], s[28:29], -v[93:94]
	v_fma_f64 v[16:17], v[24:25], s[8:9], v[165:166]
	v_fma_f64 v[93:94], v[24:25], s[10:11], v[165:166]
	;; [unrolled: 1-line block ×4, first 2 shown]
	v_add_f64_e32 v[24:25], v[81:82], v[29:30]
	v_add_f64_e32 v[29:30], v[141:142], v[49:50]
	;; [unrolled: 1-line block ×42, first 2 shown]
	v_mul_u32_u24_e32 v29, 10, v44
	v_mad_u32_u24 v30, 0xa0, v44, v46
	s_delay_alu instid0(VALU_DEP_2)
	v_lshlrev_b32_e32 v29, 4, v29
	v_add_f64_e32 v[0:1], v[67:68], v[0:1]
	v_add_f64_e32 v[2:3], v[103:104], v[2:3]
	ds_store_b128 v30, v[12:15] offset:32
	ds_store_b128 v30, v[20:23] offset:48
	;; [unrolled: 1-line block ×10, first 2 shown]
	ds_store_b128 v30, v[0:3]
	global_wb scope:SCOPE_SE
	s_wait_dscnt 0x0
	s_barrier_signal -1
	s_barrier_wait -1
	global_inv scope:SCOPE_SE
	s_clause 0x9
	global_load_b128 v[4:7], v29, s[20:21]
	global_load_b128 v[8:11], v29, s[20:21] offset:144
	global_load_b128 v[12:15], v29, s[20:21] offset:16
	;; [unrolled: 1-line block ×9, first 2 shown]
	ds_load_b128 v[63:66], v46 offset:176
	ds_load_b128 v[0:3], v28
	ds_load_b128 v[28:31], v46 offset:1760
	ds_load_b128 v[67:70], v46 offset:352
	ds_load_b128 v[71:74], v46 offset:1584
	ds_load_b128 v[75:78], v46 offset:528
	ds_load_b128 v[79:82], v46 offset:1408
	ds_load_b128 v[83:86], v46 offset:704
	ds_load_b128 v[87:90], v46 offset:880
	ds_load_b128 v[91:94], v46 offset:1232
	ds_load_b128 v[95:98], v46 offset:1056
	global_wb scope:SCOPE_SE
	s_wait_loadcnt_dscnt 0x0
	s_barrier_signal -1
	s_barrier_wait -1
	global_inv scope:SCOPE_SE
	v_mul_f64_e32 v[99:100], v[65:66], v[6:7]
	v_mul_f64_e32 v[6:7], v[63:64], v[6:7]
	;; [unrolled: 1-line block ×18, first 2 shown]
	v_fma_f64 v[63:64], v[63:64], v[4:5], v[99:100]
	v_fma_f64 v[65:66], v[65:66], v[4:5], -v[6:7]
	v_mul_f64_e32 v[99:100], v[75:76], v[22:23]
	v_mul_f64_e32 v[22:23], v[77:78], v[22:23]
	v_fma_f64 v[4:5], v[30:31], v[8:9], -v[101:102]
	v_fma_f64 v[69:70], v[69:70], v[12:13], -v[103:104]
	;; [unrolled: 1-line block ×3, first 2 shown]
	v_fma_f64 v[67:68], v[67:68], v[12:13], v[14:15]
	v_fma_f64 v[8:9], v[28:29], v[8:9], v[10:11]
	;; [unrolled: 1-line block ×4, first 2 shown]
	v_fma_f64 v[16:17], v[93:94], v[55:56], -v[113:114]
	v_fma_f64 v[18:19], v[91:92], v[55:56], v[57:58]
	v_fma_f64 v[26:27], v[89:90], v[51:52], -v[53:54]
	v_fma_f64 v[28:29], v[83:84], v[47:48], v[109:110]
	v_fma_f64 v[30:31], v[85:86], v[47:48], -v[49:50]
	v_fma_f64 v[12:13], v[81:82], v[24:25], -v[107:108]
	v_fma_f64 v[24:25], v[87:88], v[51:52], v[111:112]
	v_add_f64_e32 v[73:74], v[0:1], v[63:64]
	v_add_f64_e32 v[101:102], v[2:3], v[65:66]
	v_fma_f64 v[77:78], v[77:78], v[20:21], -v[99:100]
	v_fma_f64 v[75:76], v[75:76], v[20:21], v[22:23]
	v_add_f64_e64 v[47:48], v[65:66], -v[4:5]
	v_add_f64_e32 v[49:50], v[65:66], v[4:5]
	v_fma_f64 v[20:21], v[95:96], v[59:60], v[115:116]
	v_fma_f64 v[22:23], v[97:98], v[59:60], -v[61:62]
	v_add_f64_e64 v[51:52], v[69:70], -v[6:7]
	v_add_f64_e32 v[57:58], v[69:70], v[6:7]
	v_add_f64_e32 v[61:62], v[63:64], v[8:9]
	v_add_f64_e64 v[63:64], v[63:64], -v[8:9]
	v_add_f64_e32 v[65:66], v[67:68], v[10:11]
	v_add_f64_e32 v[81:82], v[28:29], v[18:19]
	v_add_f64_e64 v[79:80], v[30:31], -v[16:17]
	v_add_f64_e32 v[91:92], v[30:31], v[16:17]
	v_add_f64_e64 v[93:94], v[28:29], -v[18:19]
	v_add_f64_e32 v[53:54], v[73:74], v[67:68]
	v_add_f64_e32 v[55:56], v[101:102], v[69:70]
	v_add_f64_e64 v[59:60], v[77:78], -v[12:13]
	v_add_f64_e64 v[67:68], v[67:68], -v[10:11]
	v_mul_f64_e32 v[95:96], s[8:9], v[47:48]
	v_mul_f64_e32 v[97:98], s[16:17], v[49:50]
	;; [unrolled: 1-line block ×10, first 2 shown]
	v_add_f64_e32 v[69:70], v[77:78], v[12:13]
	v_add_f64_e32 v[71:72], v[75:76], v[14:15]
	v_add_f64_e64 v[73:74], v[75:76], -v[14:15]
	v_mul_f64_e32 v[111:112], s[12:13], v[51:52]
	v_mul_f64_e32 v[113:114], s[26:27], v[51:52]
	;; [unrolled: 1-line block ×7, first 2 shown]
	v_add_f64_e32 v[83:84], v[24:25], v[20:21]
	v_add_f64_e64 v[85:86], v[24:25], -v[20:21]
	v_add_f64_e32 v[87:88], v[26:27], v[22:23]
	v_add_f64_e64 v[89:90], v[26:27], -v[22:23]
	v_mul_f64_e32 v[141:142], s[24:25], v[79:80]
	v_mul_f64_e32 v[147:148], s[34:35], v[91:92]
	;; [unrolled: 1-line block ×10, first 2 shown]
	v_add_f64_e32 v[53:54], v[53:54], v[75:76]
	v_add_f64_e32 v[55:56], v[55:56], v[77:78]
	v_mul_f64_e32 v[75:76], s[18:19], v[57:58]
	v_mul_f64_e32 v[77:78], s[34:35], v[57:58]
	;; [unrolled: 1-line block ×4, first 2 shown]
	v_fma_f64 v[171:172], v[61:62], s[18:19], v[99:100]
	v_fma_f64 v[173:174], v[63:64], s[14:15], v[101:102]
	v_fma_f64 v[99:100], v[61:62], s[18:19], -v[99:100]
	v_fma_f64 v[175:176], v[61:62], s[28:29], v[103:104]
	v_fma_f64 v[177:178], v[63:64], s[24:25], v[105:106]
	v_fma_f64 v[103:104], v[61:62], s[28:29], -v[103:104]
	;; [unrolled: 3-line block ×3, first 2 shown]
	v_fma_f64 v[183:184], v[61:62], s[40:41], v[47:48]
	v_fma_f64 v[47:48], v[61:62], s[40:41], -v[47:48]
	v_fma_f64 v[109:110], v[63:64], s[26:27], v[109:110]
	v_fma_f64 v[105:106], v[63:64], s[22:23], v[105:106]
	;; [unrolled: 1-line block ×3, first 2 shown]
	v_mul_f64_e32 v[125:126], s[38:39], v[59:60]
	v_mul_f64_e32 v[127:128], s[14:15], v[59:60]
	;; [unrolled: 1-line block ×6, first 2 shown]
	v_fma_f64 v[185:186], v[65:66], s[34:35], v[113:114]
	v_fma_f64 v[113:114], v[65:66], s[34:35], -v[113:114]
	v_fma_f64 v[187:188], v[65:66], s[40:41], v[115:116]
	v_fma_f64 v[115:116], v[65:66], s[40:41], -v[115:116]
	;; [unrolled: 2-line block ×4, first 2 shown]
	v_mul_f64_e32 v[135:136], s[18:19], v[69:70]
	v_fma_f64 v[195:196], v[67:68], s[36:37], v[119:120]
	v_mul_f64_e32 v[137:138], s[16:17], v[69:70]
	v_mul_f64_e32 v[69:70], s[34:35], v[69:70]
	v_add_f64_e32 v[28:29], v[53:54], v[28:29]
	v_add_f64_e32 v[30:31], v[55:56], v[30:31]
	v_fma_f64 v[53:54], v[61:62], s[16:17], v[95:96]
	v_fma_f64 v[55:56], v[63:64], s[10:11], v[97:98]
	v_fma_f64 v[95:96], v[61:62], s[16:17], -v[95:96]
	v_fma_f64 v[97:98], v[63:64], s[8:9], v[97:98]
	v_fma_f64 v[61:62], v[63:64], s[38:39], v[49:50]
	v_fma_f64 v[49:50], v[63:64], s[36:37], v[49:50]
	v_fma_f64 v[63:64], v[65:66], s[18:19], v[111:112]
	v_fma_f64 v[111:112], v[65:66], s[18:19], -v[111:112]
	v_fma_f64 v[65:66], v[67:68], s[14:15], v[75:76]
	v_fma_f64 v[75:76], v[67:68], s[12:13], v[75:76]
	;; [unrolled: 1-line block ×3, first 2 shown]
	v_add_f64_e32 v[171:172], v[0:1], v[171:172]
	v_add_f64_e32 v[173:174], v[2:3], v[173:174]
	;; [unrolled: 1-line block ×10, first 2 shown]
	v_fma_f64 v[119:120], v[67:68], s[38:39], v[119:120]
	v_add_f64_e32 v[105:106], v[2:3], v[105:106]
	v_fma_f64 v[77:78], v[67:68], s[26:27], v[77:78]
	v_add_f64_e32 v[101:102], v[2:3], v[101:102]
	v_fma_f64 v[197:198], v[71:72], s[40:41], v[125:126]
	v_fma_f64 v[125:126], v[71:72], s[40:41], -v[125:126]
	v_fma_f64 v[199:200], v[71:72], s[18:19], v[127:128]
	v_fma_f64 v[127:128], v[71:72], s[18:19], -v[127:128]
	;; [unrolled: 2-line block ×4, first 2 shown]
	v_mul_f64_e32 v[157:158], s[10:11], v[89:90]
	v_mul_f64_e32 v[163:164], s[40:41], v[87:88]
	;; [unrolled: 1-line block ×3, first 2 shown]
	v_add_f64_e32 v[24:25], v[28:29], v[24:25]
	v_add_f64_e32 v[26:27], v[30:31], v[26:27]
	;; [unrolled: 1-line block ×3, first 2 shown]
	v_fma_f64 v[28:29], v[67:68], s[22:23], v[121:122]
	v_add_f64_e32 v[95:96], v[0:1], v[95:96]
	v_add_f64_e32 v[97:98], v[2:3], v[97:98]
	v_fma_f64 v[30:31], v[67:68], s[24:25], v[121:122]
	v_fma_f64 v[121:122], v[67:68], s[8:9], v[57:58]
	v_add_f64_e32 v[61:62], v[2:3], v[61:62]
	v_fma_f64 v[57:58], v[67:68], s[10:11], v[57:58]
	v_add_f64_e32 v[0:1], v[0:1], v[47:48]
	v_add_f64_e32 v[47:48], v[2:3], v[49:50]
	;; [unrolled: 1-line block ×4, first 2 shown]
	v_fma_f64 v[67:68], v[71:72], s[28:29], v[123:124]
	v_fma_f64 v[123:124], v[71:72], s[28:29], -v[123:124]
	v_fma_f64 v[71:72], v[73:74], s[24:25], v[131:132]
	v_fma_f64 v[131:132], v[73:74], s[22:23], v[131:132]
	;; [unrolled: 1-line block ×3, first 2 shown]
	v_add_f64_e32 v[99:100], v[113:114], v[99:100]
	v_add_f64_e32 v[113:114], v[195:196], v[177:178]
	;; [unrolled: 1-line block ×4, first 2 shown]
	v_fma_f64 v[109:110], v[73:74], s[14:15], v[135:136]
	v_fma_f64 v[135:136], v[73:74], s[8:9], v[137:138]
	v_add_f64_e32 v[107:108], v[117:118], v[107:108]
	v_add_f64_e32 v[117:118], v[191:192], v[183:184]
	v_fma_f64 v[205:206], v[81:82], s[28:29], v[141:142]
	v_mul_f64_e32 v[159:160], s[26:27], v[89:90]
	v_mul_f64_e32 v[167:168], s[34:35], v[87:88]
	v_fma_f64 v[141:142], v[81:82], s[28:29], -v[141:142]
	v_fma_f64 v[207:208], v[81:82], s[16:17], v[143:144]
	v_fma_f64 v[143:144], v[81:82], s[16:17], -v[143:144]
	v_fma_f64 v[209:210], v[81:82], s[40:41], v[145:146]
	v_fma_f64 v[145:146], v[81:82], s[40:41], -v[145:146]
	v_mul_f64_e32 v[161:162], s[14:15], v[89:90]
	v_mul_f64_e32 v[169:170], s[18:19], v[87:88]
	;; [unrolled: 1-line block ×3, first 2 shown]
	v_add_f64_e32 v[20:21], v[24:25], v[20:21]
	v_add_f64_e32 v[22:23], v[26:27], v[22:23]
	v_fma_f64 v[24:25], v[73:74], s[36:37], v[133:134]
	v_add_f64_e32 v[53:54], v[63:64], v[53:54]
	v_add_f64_e32 v[63:64], v[111:112], v[95:96]
	;; [unrolled: 1-line block ×6, first 2 shown]
	v_fma_f64 v[26:27], v[73:74], s[38:39], v[133:134]
	v_fma_f64 v[133:134], v[73:74], s[10:11], v[137:138]
	v_add_f64_e32 v[28:29], v[28:29], v[181:182]
	v_fma_f64 v[137:138], v[73:74], s[30:31], v[69:70]
	v_add_f64_e32 v[61:62], v[121:122], v[61:62]
	;; [unrolled: 2-line block ×3, first 2 shown]
	v_add_f64_e32 v[47:48], v[57:58], v[47:48]
	v_add_f64_e32 v[30:31], v[30:31], v[49:50]
	;; [unrolled: 1-line block ×5, first 2 shown]
	v_fma_f64 v[65:66], v[93:94], s[26:27], v[147:148]
	v_fma_f64 v[77:78], v[93:94], s[22:23], v[149:150]
	;; [unrolled: 1-line block ×3, first 2 shown]
	v_fma_f64 v[139:140], v[81:82], s[34:35], -v[139:140]
	v_add_f64_e32 v[55:56], v[55:56], v[113:114]
	v_fma_f64 v[105:106], v[93:94], s[38:39], v[153:154]
	v_mul_f64_e32 v[89:90], s[22:23], v[89:90]
	v_mul_f64_e32 v[87:88], s[28:29], v[87:88]
	v_fma_f64 v[121:122], v[93:94], s[12:13], v[91:92]
	v_fma_f64 v[91:92], v[93:94], s[14:15], v[91:92]
	;; [unrolled: 1-line block ×3, first 2 shown]
	v_add_f64_e32 v[107:108], v[129:130], v[107:108]
	v_fma_f64 v[101:102], v[93:94], s[8:9], v[151:152]
	v_fma_f64 v[57:58], v[93:94], s[30:31], v[147:148]
	;; [unrolled: 1-line block ×3, first 2 shown]
	v_fma_f64 v[147:148], v[83:84], s[40:41], -v[155:156]
	v_add_f64_e32 v[18:19], v[20:21], v[18:19]
	v_add_f64_e32 v[16:17], v[22:23], v[16:17]
	v_fma_f64 v[20:21], v[81:82], s[18:19], v[79:80]
	v_add_f64_e32 v[53:54], v[67:68], v[53:54]
	v_fma_f64 v[22:23], v[81:82], s[18:19], -v[79:80]
	v_add_f64_e32 v[67:68], v[131:132], v[75:76]
	v_add_f64_e32 v[75:76], v[197:198], v[95:96]
	;; [unrolled: 1-line block ×3, first 2 shown]
	v_fma_f64 v[81:82], v[93:94], s[10:11], v[151:152]
	v_add_f64_e32 v[97:98], v[199:200], v[111:112]
	v_add_f64_e32 v[95:96], v[125:126], v[99:100]
	;; [unrolled: 1-line block ×11, first 2 shown]
	v_fma_f64 v[79:80], v[93:94], s[24:25], v[149:150]
	v_add_f64_e32 v[26:27], v[26:27], v[51:52]
	v_add_f64_e32 v[63:64], v[123:124], v[63:64]
	;; [unrolled: 1-line block ×3, first 2 shown]
	v_fma_f64 v[149:150], v[83:84], s[16:17], v[157:158]
	v_fma_f64 v[51:52], v[83:84], s[34:35], v[159:160]
	;; [unrolled: 1-line block ×8, first 2 shown]
	v_fma_f64 v[151:152], v[83:84], s[16:17], -v[157:158]
	v_fma_f64 v[59:60], v[83:84], s[34:35], -v[159:160]
	v_fma_f64 v[71:72], v[83:84], s[18:19], -v[161:162]
	v_fma_f64 v[83:84], v[83:84], s[28:29], -v[89:90]
	v_fma_f64 v[89:90], v[85:86], s[38:39], v[163:164]
	v_fma_f64 v[117:118], v[85:86], s[26:27], v[167:168]
	v_add_f64_e32 v[14:15], v[18:19], v[14:15]
	v_add_f64_e32 v[12:13], v[16:17], v[12:13]
	v_fma_f64 v[16:17], v[85:86], s[36:37], v[163:164]
	v_fma_f64 v[18:19], v[85:86], s[8:9], v[165:166]
	;; [unrolled: 1-line block ×3, first 2 shown]
	v_add_f64_e32 v[65:66], v[65:66], v[67:68]
	v_add_f64_e32 v[67:68], v[205:206], v[75:76]
	;; [unrolled: 1-line block ×5, first 2 shown]
	v_fma_f64 v[85:86], v[85:86], s[22:23], v[87:88]
	v_add_f64_e32 v[53:54], v[73:74], v[53:54]
	v_add_f64_e32 v[81:82], v[209:210], v[103:104]
	;; [unrolled: 1-line block ×39, first 2 shown]
	ds_store_b128 v46, v[14:17] offset:352
	ds_store_b128 v46, v[22:25] offset:528
	;; [unrolled: 1-line block ×10, first 2 shown]
	ds_store_b128 v46, v[6:9]
	global_wb scope:SCOPE_SE
	s_wait_dscnt 0x0
	s_barrier_signal -1
	s_barrier_wait -1
	global_inv scope:SCOPE_SE
	s_and_saveexec_b32 s8, s33
	s_cbranch_execz .LBB0_16
; %bb.15:
	v_mad_co_u64_u32 v[8:9], null, s4, v41, 0
	v_mad_co_u64_u32 v[0:1], null, s6, v44, 0
	;; [unrolled: 1-line block ×3, first 2 shown]
	s_lshl_b64 s[2:3], s[2:3], 4
	v_add3_u32 v25, 0, v45, v43
	s_delay_alu instid0(VALU_DEP_4)
	v_mov_b32_e32 v2, v9
	s_wait_alu 0xfffe
	s_add_nc_u64 s[0:1], s[0:1], s[2:3]
	v_mad_co_u64_u32 v[12:13], null, s4, v40, 0
	v_mad_co_u64_u32 v[21:22], null, s4, v38, 0
	;; [unrolled: 1-line block ×3, first 2 shown]
	s_delay_alu instid0(VALU_DEP_1) | instskip(SKIP_1) | instid1(VALU_DEP_1)
	v_mov_b32_e32 v1, v3
	v_mad_co_u64_u32 v[5:6], null, s5, v41, v[2:3]
	v_dual_mov_b32 v4, v11 :: v_dual_mov_b32 v9, v5
	s_delay_alu instid0(VALU_DEP_1) | instskip(NEXT) | instid1(VALU_DEP_4)
	v_mad_co_u64_u32 v[14:15], null, s5, v42, v[4:5]
	v_lshlrev_b64_e32 v[15:16], 4, v[0:1]
	ds_load_b128 v[0:3], v25
	ds_load_b128 v[4:7], v25 offset:176
	v_lshlrev_b64_e32 v[8:9], 4, v[8:9]
	v_mov_b32_e32 v11, v14
	v_add_co_u32 v26, vcc_lo, s0, v15
	v_mad_co_u64_u32 v[14:15], null, s4, v39, 0
	s_wait_alu 0xfffd
	v_add_co_ci_u32_e32 v27, vcc_lo, s1, v16, vcc_lo
	s_delay_alu instid0(VALU_DEP_2) | instskip(SKIP_1) | instid1(VALU_DEP_4)
	v_mad_co_u64_u32 v[16:17], null, s5, v40, v[13:14]
	v_add_co_u32 v17, vcc_lo, v26, v8
	v_mov_b32_e32 v8, v15
	v_lshlrev_b64_e32 v[10:11], 4, v[10:11]
	s_wait_alu 0xfffd
	v_add_co_ci_u32_e32 v18, vcc_lo, v27, v9, vcc_lo
	v_mov_b32_e32 v13, v16
	v_mad_co_u64_u32 v[15:16], null, s5, v39, v[8:9]
	s_delay_alu instid0(VALU_DEP_4)
	v_add_co_u32 v19, vcc_lo, v26, v10
	s_wait_alu 0xfffd
	v_add_co_ci_u32_e32 v20, vcc_lo, v27, v11, vcc_lo
	ds_load_b128 v[8:11], v25 offset:352
	s_wait_dscnt 0x2
	global_store_b128 v[17:18], v[0:3], off
	s_wait_dscnt 0x1
	global_store_b128 v[19:20], v[4:7], off
	v_mov_b32_e32 v6, v22
	v_lshlrev_b64_e32 v[4:5], 4, v[12:13]
	v_lshlrev_b64_e32 v[14:15], 4, v[14:15]
	ds_load_b128 v[0:3], v25 offset:528
	v_mad_co_u64_u32 v[12:13], null, s4, v37, 0
	v_mad_co_u64_u32 v[6:7], null, s5, v38, v[6:7]
	v_add_co_u32 v4, vcc_lo, v26, v4
	s_wait_alu 0xfffd
	v_add_co_ci_u32_e32 v5, vcc_lo, v27, v5, vcc_lo
	v_add_co_u32 v7, vcc_lo, v26, v14
	s_wait_dscnt 0x1
	global_store_b128 v[4:5], v[8:11], off
	s_wait_alu 0xfffd
	v_add_co_ci_u32_e32 v8, vcc_lo, v27, v15, vcc_lo
	v_mad_co_u64_u32 v[14:15], null, s4, v36, 0
	s_wait_dscnt 0x0
	global_store_b128 v[7:8], v[0:3], off
	ds_load_b128 v[0:3], v25 offset:704
	v_mov_b32_e32 v10, v15
	s_delay_alu instid0(VALU_DEP_1) | instskip(SKIP_2) | instid1(VALU_DEP_3)
	v_mad_co_u64_u32 v[18:19], null, s5, v36, v[10:11]
	v_mov_b32_e32 v4, v13
	v_mad_co_u64_u32 v[19:20], null, s4, v35, 0
	v_mov_b32_e32 v15, v18
	s_delay_alu instid0(VALU_DEP_3) | instskip(NEXT) | instid1(VALU_DEP_1)
	v_mad_co_u64_u32 v[4:5], null, s5, v37, v[4:5]
	v_dual_mov_b32 v22, v6 :: v_dual_mov_b32 v13, v4
	ds_load_b128 v[4:7], v25 offset:880
	v_lshlrev_b64_e32 v[8:9], 4, v[21:22]
	v_lshlrev_b64_e32 v[12:13], 4, v[12:13]
	s_delay_alu instid0(VALU_DEP_2) | instskip(SKIP_1) | instid1(VALU_DEP_3)
	v_add_co_u32 v16, vcc_lo, v26, v8
	s_wait_alu 0xfffd
	v_add_co_ci_u32_e32 v17, vcc_lo, v27, v9, vcc_lo
	ds_load_b128 v[8:11], v25 offset:1056
	v_add_co_u32 v12, vcc_lo, v26, v12
	s_wait_dscnt 0x2
	global_store_b128 v[16:17], v[0:3], off
	v_lshlrev_b64_e32 v[1:2], 4, v[14:15]
	s_wait_alu 0xfffd
	v_add_co_ci_u32_e32 v13, vcc_lo, v27, v13, vcc_lo
	v_mov_b32_e32 v0, v20
	v_mad_co_u64_u32 v[14:15], null, s4, v34, 0
	s_wait_dscnt 0x1
	global_store_b128 v[12:13], v[4:7], off
	v_add_co_u32 v12, vcc_lo, v26, v1
	v_mad_co_u64_u32 v[4:5], null, s5, v35, v[0:1]
	v_mad_co_u64_u32 v[5:6], null, s4, v33, 0
	s_wait_alu 0xfffd
	v_add_co_ci_u32_e32 v13, vcc_lo, v27, v2, vcc_lo
	ds_load_b128 v[0:3], v25 offset:1232
	v_mad_co_u64_u32 v[16:17], null, s4, v32, 0
	v_mov_b32_e32 v20, v4
	v_mov_b32_e32 v4, v6
	s_wait_dscnt 0x1
	global_store_b128 v[12:13], v[8:11], off
	v_mov_b32_e32 v6, v15
	v_lshlrev_b64_e32 v[7:8], 4, v[19:20]
	v_mad_co_u64_u32 v[9:10], null, s5, v33, v[4:5]
	v_mov_b32_e32 v4, v17
	s_delay_alu instid0(VALU_DEP_3) | instskip(NEXT) | instid1(VALU_DEP_2)
	v_mad_co_u64_u32 v[10:11], null, s5, v34, v[6:7]
	v_mad_co_u64_u32 v[20:21], null, s5, v32, v[4:5]
	s_delay_alu instid0(VALU_DEP_4)
	v_mov_b32_e32 v6, v9
	v_add_co_u32 v18, vcc_lo, v26, v7
	s_wait_alu 0xfffd
	v_add_co_ci_u32_e32 v19, vcc_lo, v27, v8, vcc_lo
	v_mov_b32_e32 v15, v10
	v_lshlrev_b64_e32 v[21:22], 4, v[5:6]
	ds_load_b128 v[4:7], v25 offset:1408
	ds_load_b128 v[8:11], v25 offset:1584
	v_mov_b32_e32 v17, v20
	v_lshlrev_b64_e32 v[23:24], 4, v[14:15]
	ds_load_b128 v[12:15], v25 offset:1760
	v_add_co_u32 v20, vcc_lo, v26, v21
	v_lshlrev_b64_e32 v[16:17], 4, v[16:17]
	s_wait_alu 0xfffd
	v_add_co_ci_u32_e32 v21, vcc_lo, v27, v22, vcc_lo
	v_add_co_u32 v22, vcc_lo, v26, v23
	s_wait_alu 0xfffd
	v_add_co_ci_u32_e32 v23, vcc_lo, v27, v24, vcc_lo
	v_add_co_u32 v16, vcc_lo, v26, v16
	s_wait_alu 0xfffd
	v_add_co_ci_u32_e32 v17, vcc_lo, v27, v17, vcc_lo
	s_wait_dscnt 0x3
	global_store_b128 v[18:19], v[0:3], off
	s_wait_dscnt 0x2
	global_store_b128 v[20:21], v[4:7], off
	;; [unrolled: 2-line block ×4, first 2 shown]
.LBB0_16:
	s_nop 0
	s_sendmsg sendmsg(MSG_DEALLOC_VGPRS)
	s_endpgm
	.section	.rodata,"a",@progbits
	.p2align	6, 0x0
	.amdhsa_kernel fft_rtc_back_len121_factors_11_11_wgs_121_tpt_11_dp_ip_CI_sbcc
		.amdhsa_group_segment_fixed_size 0
		.amdhsa_private_segment_fixed_size 0
		.amdhsa_kernarg_size 96
		.amdhsa_user_sgpr_count 2
		.amdhsa_user_sgpr_dispatch_ptr 0
		.amdhsa_user_sgpr_queue_ptr 0
		.amdhsa_user_sgpr_kernarg_segment_ptr 1
		.amdhsa_user_sgpr_dispatch_id 0
		.amdhsa_user_sgpr_private_segment_size 0
		.amdhsa_wavefront_size32 1
		.amdhsa_uses_dynamic_stack 0
		.amdhsa_enable_private_segment 0
		.amdhsa_system_sgpr_workgroup_id_x 1
		.amdhsa_system_sgpr_workgroup_id_y 0
		.amdhsa_system_sgpr_workgroup_id_z 0
		.amdhsa_system_sgpr_workgroup_info 0
		.amdhsa_system_vgpr_workitem_id 0
		.amdhsa_next_free_vgpr 213
		.amdhsa_next_free_sgpr 49
		.amdhsa_reserve_vcc 1
		.amdhsa_float_round_mode_32 0
		.amdhsa_float_round_mode_16_64 0
		.amdhsa_float_denorm_mode_32 3
		.amdhsa_float_denorm_mode_16_64 3
		.amdhsa_fp16_overflow 0
		.amdhsa_workgroup_processor_mode 1
		.amdhsa_memory_ordered 1
		.amdhsa_forward_progress 0
		.amdhsa_round_robin_scheduling 0
		.amdhsa_exception_fp_ieee_invalid_op 0
		.amdhsa_exception_fp_denorm_src 0
		.amdhsa_exception_fp_ieee_div_zero 0
		.amdhsa_exception_fp_ieee_overflow 0
		.amdhsa_exception_fp_ieee_underflow 0
		.amdhsa_exception_fp_ieee_inexact 0
		.amdhsa_exception_int_div_zero 0
	.end_amdhsa_kernel
	.text
.Lfunc_end0:
	.size	fft_rtc_back_len121_factors_11_11_wgs_121_tpt_11_dp_ip_CI_sbcc, .Lfunc_end0-fft_rtc_back_len121_factors_11_11_wgs_121_tpt_11_dp_ip_CI_sbcc
                                        ; -- End function
	.section	.AMDGPU.csdata,"",@progbits
; Kernel info:
; codeLenInByte = 8264
; NumSgprs: 51
; NumVgprs: 213
; ScratchSize: 0
; MemoryBound: 0
; FloatMode: 240
; IeeeMode: 1
; LDSByteSize: 0 bytes/workgroup (compile time only)
; SGPRBlocks: 6
; VGPRBlocks: 26
; NumSGPRsForWavesPerEU: 51
; NumVGPRsForWavesPerEU: 213
; Occupancy: 7
; WaveLimiterHint : 1
; COMPUTE_PGM_RSRC2:SCRATCH_EN: 0
; COMPUTE_PGM_RSRC2:USER_SGPR: 2
; COMPUTE_PGM_RSRC2:TRAP_HANDLER: 0
; COMPUTE_PGM_RSRC2:TGID_X_EN: 1
; COMPUTE_PGM_RSRC2:TGID_Y_EN: 0
; COMPUTE_PGM_RSRC2:TGID_Z_EN: 0
; COMPUTE_PGM_RSRC2:TIDIG_COMP_CNT: 0
	.text
	.p2alignl 7, 3214868480
	.fill 96, 4, 3214868480
	.type	__hip_cuid_7f04ee38f96bd784,@object ; @__hip_cuid_7f04ee38f96bd784
	.section	.bss,"aw",@nobits
	.globl	__hip_cuid_7f04ee38f96bd784
__hip_cuid_7f04ee38f96bd784:
	.byte	0                               ; 0x0
	.size	__hip_cuid_7f04ee38f96bd784, 1

	.ident	"AMD clang version 19.0.0git (https://github.com/RadeonOpenCompute/llvm-project roc-6.4.0 25133 c7fe45cf4b819c5991fe208aaa96edf142730f1d)"
	.section	".note.GNU-stack","",@progbits
	.addrsig
	.addrsig_sym __hip_cuid_7f04ee38f96bd784
	.amdgpu_metadata
---
amdhsa.kernels:
  - .args:
      - .actual_access:  read_only
        .address_space:  global
        .offset:         0
        .size:           8
        .value_kind:     global_buffer
      - .address_space:  global
        .offset:         8
        .size:           8
        .value_kind:     global_buffer
      - .offset:         16
        .size:           8
        .value_kind:     by_value
      - .actual_access:  read_only
        .address_space:  global
        .offset:         24
        .size:           8
        .value_kind:     global_buffer
      - .actual_access:  read_only
        .address_space:  global
        .offset:         32
        .size:           8
        .value_kind:     global_buffer
      - .offset:         40
        .size:           8
        .value_kind:     by_value
      - .actual_access:  read_only
        .address_space:  global
        .offset:         48
        .size:           8
        .value_kind:     global_buffer
      - .actual_access:  read_only
        .address_space:  global
        .offset:         56
        .size:           8
        .value_kind:     global_buffer
      - .offset:         64
        .size:           4
        .value_kind:     by_value
      - .actual_access:  read_only
        .address_space:  global
        .offset:         72
        .size:           8
        .value_kind:     global_buffer
      - .actual_access:  read_only
        .address_space:  global
        .offset:         80
        .size:           8
        .value_kind:     global_buffer
      - .address_space:  global
        .offset:         88
        .size:           8
        .value_kind:     global_buffer
    .group_segment_fixed_size: 0
    .kernarg_segment_align: 8
    .kernarg_segment_size: 96
    .language:       OpenCL C
    .language_version:
      - 2
      - 0
    .max_flat_workgroup_size: 121
    .name:           fft_rtc_back_len121_factors_11_11_wgs_121_tpt_11_dp_ip_CI_sbcc
    .private_segment_fixed_size: 0
    .sgpr_count:     51
    .sgpr_spill_count: 0
    .symbol:         fft_rtc_back_len121_factors_11_11_wgs_121_tpt_11_dp_ip_CI_sbcc.kd
    .uniform_work_group_size: 1
    .uses_dynamic_stack: false
    .vgpr_count:     213
    .vgpr_spill_count: 0
    .wavefront_size: 32
    .workgroup_processor_mode: 1
amdhsa.target:   amdgcn-amd-amdhsa--gfx1201
amdhsa.version:
  - 1
  - 2
...

	.end_amdgpu_metadata
